;; amdgpu-corpus repo=ROCm/rocFFT kind=compiled arch=gfx950 opt=O3
	.text
	.amdgcn_target "amdgcn-amd-amdhsa--gfx950"
	.amdhsa_code_object_version 6
	.protected	fft_rtc_back_len792_factors_2_2_2_3_3_11_wgs_176_tpt_88_half_ip_CI_unitstride_sbrr_dirReg ; -- Begin function fft_rtc_back_len792_factors_2_2_2_3_3_11_wgs_176_tpt_88_half_ip_CI_unitstride_sbrr_dirReg
	.globl	fft_rtc_back_len792_factors_2_2_2_3_3_11_wgs_176_tpt_88_half_ip_CI_unitstride_sbrr_dirReg
	.p2align	8
	.type	fft_rtc_back_len792_factors_2_2_2_3_3_11_wgs_176_tpt_88_half_ip_CI_unitstride_sbrr_dirReg,@function
fft_rtc_back_len792_factors_2_2_2_3_3_11_wgs_176_tpt_88_half_ip_CI_unitstride_sbrr_dirReg: ; @fft_rtc_back_len792_factors_2_2_2_3_3_11_wgs_176_tpt_88_half_ip_CI_unitstride_sbrr_dirReg
; %bb.0:
	s_load_dwordx2 s[8:9], s[0:1], 0x50
	s_load_dwordx4 s[4:7], s[0:1], 0x0
	s_load_dwordx2 s[10:11], s[0:1], 0x18
	v_mul_u32_u24_e32 v1, 0x2e9, v0
	v_lshrrev_b32_e32 v10, 16, v1
	v_lshl_add_u32 v6, s2, 1, v10
	v_mov_b32_e32 v4, 0
	s_waitcnt lgkmcnt(0)
	v_cmp_lt_u64_e64 s[2:3], s[6:7], 2
	v_mov_b32_e32 v7, v4
	s_and_b64 vcc, exec, s[2:3]
	v_mov_b64_e32 v[2:3], 0
	s_cbranch_vccnz .LBB0_8
; %bb.1:
	s_load_dwordx2 s[2:3], s[0:1], 0x10
	s_add_u32 s12, s10, 8
	s_addc_u32 s13, s11, 0
	s_mov_b64 s[14:15], 1
	v_mov_b64_e32 v[2:3], 0
	s_waitcnt lgkmcnt(0)
	s_add_u32 s16, s2, 8
	s_addc_u32 s17, s3, 0
.LBB0_2:                                ; =>This Inner Loop Header: Depth=1
	s_load_dwordx2 s[18:19], s[16:17], 0x0
                                        ; implicit-def: $vgpr8_vgpr9
	s_waitcnt lgkmcnt(0)
	v_or_b32_e32 v5, s19, v7
	v_cmp_ne_u64_e32 vcc, 0, v[4:5]
	s_and_saveexec_b64 s[2:3], vcc
	s_xor_b64 s[20:21], exec, s[2:3]
	s_cbranch_execz .LBB0_4
; %bb.3:                                ;   in Loop: Header=BB0_2 Depth=1
	v_cvt_f32_u32_e32 v1, s18
	v_cvt_f32_u32_e32 v5, s19
	s_sub_u32 s2, 0, s18
	s_subb_u32 s3, 0, s19
	v_fmac_f32_e32 v1, 0x4f800000, v5
	v_rcp_f32_e32 v1, v1
	s_nop 0
	v_mul_f32_e32 v1, 0x5f7ffffc, v1
	v_mul_f32_e32 v5, 0x2f800000, v1
	v_trunc_f32_e32 v5, v5
	v_fmac_f32_e32 v1, 0xcf800000, v5
	v_cvt_u32_f32_e32 v5, v5
	v_cvt_u32_f32_e32 v1, v1
	v_mul_lo_u32 v8, s2, v5
	v_mul_hi_u32 v11, s2, v1
	v_mul_lo_u32 v9, s3, v1
	v_add_u32_e32 v11, v11, v8
	v_mul_lo_u32 v14, s2, v1
	v_add_u32_e32 v11, v11, v9
	v_mul_hi_u32 v8, v1, v14
	v_mul_hi_u32 v13, v1, v11
	v_mul_lo_u32 v12, v1, v11
	v_mov_b32_e32 v9, v4
	v_lshl_add_u64 v[8:9], v[8:9], 0, v[12:13]
	v_mul_hi_u32 v13, v5, v14
	v_mul_lo_u32 v14, v5, v14
	v_add_co_u32_e32 v8, vcc, v8, v14
	v_mul_hi_u32 v12, v5, v11
	s_nop 0
	v_addc_co_u32_e32 v8, vcc, v9, v13, vcc
	v_mov_b32_e32 v9, v4
	s_nop 0
	v_addc_co_u32_e32 v13, vcc, 0, v12, vcc
	v_mul_lo_u32 v12, v5, v11
	v_lshl_add_u64 v[8:9], v[8:9], 0, v[12:13]
	v_add_co_u32_e32 v1, vcc, v1, v8
	v_mul_lo_u32 v12, s2, v1
	s_nop 0
	v_addc_co_u32_e32 v5, vcc, v5, v9, vcc
	v_mul_lo_u32 v8, s2, v5
	v_mul_hi_u32 v9, s2, v1
	v_add_u32_e32 v8, v9, v8
	v_mul_lo_u32 v9, s3, v1
	v_add_u32_e32 v11, v8, v9
	v_mul_hi_u32 v15, v5, v12
	v_mul_lo_u32 v16, v5, v12
	v_mul_hi_u32 v9, v1, v11
	v_mul_lo_u32 v8, v1, v11
	v_mul_hi_u32 v12, v1, v12
	v_mov_b32_e32 v13, v4
	v_lshl_add_u64 v[8:9], v[12:13], 0, v[8:9]
	v_add_co_u32_e32 v8, vcc, v8, v16
	v_mul_hi_u32 v14, v5, v11
	s_nop 0
	v_addc_co_u32_e32 v8, vcc, v9, v15, vcc
	v_mul_lo_u32 v12, v5, v11
	s_nop 0
	v_addc_co_u32_e32 v13, vcc, 0, v14, vcc
	v_mov_b32_e32 v9, v4
	v_lshl_add_u64 v[8:9], v[8:9], 0, v[12:13]
	v_add_co_u32_e32 v1, vcc, v1, v8
	v_mul_hi_u32 v12, v6, v1
	s_nop 0
	v_addc_co_u32_e32 v5, vcc, v5, v9, vcc
	v_mad_u64_u32 v[8:9], s[2:3], v6, v5, 0
	v_mov_b32_e32 v13, v4
	v_lshl_add_u64 v[8:9], v[12:13], 0, v[8:9]
	v_mad_u64_u32 v[14:15], s[2:3], v7, v1, 0
	v_add_co_u32_e32 v1, vcc, v8, v14
	v_mad_u64_u32 v[12:13], s[2:3], v7, v5, 0
	s_nop 0
	v_addc_co_u32_e32 v8, vcc, v9, v15, vcc
	v_mov_b32_e32 v9, v4
	s_nop 0
	v_addc_co_u32_e32 v13, vcc, 0, v13, vcc
	v_lshl_add_u64 v[8:9], v[8:9], 0, v[12:13]
	v_mul_lo_u32 v1, s19, v8
	v_mul_lo_u32 v5, s18, v9
	v_mad_u64_u32 v[12:13], s[2:3], s18, v8, 0
	v_add3_u32 v1, v13, v5, v1
	v_sub_u32_e32 v5, v7, v1
	v_mov_b32_e32 v11, s19
	v_sub_co_u32_e32 v16, vcc, v6, v12
	v_lshl_add_u64 v[14:15], v[8:9], 0, 1
	s_nop 0
	v_subb_co_u32_e64 v5, s[2:3], v5, v11, vcc
	v_subrev_co_u32_e64 v11, s[2:3], s18, v16
	v_subb_co_u32_e32 v1, vcc, v7, v1, vcc
	s_nop 0
	v_subbrev_co_u32_e64 v5, s[2:3], 0, v5, s[2:3]
	v_cmp_le_u32_e64 s[2:3], s19, v5
	v_cmp_le_u32_e32 vcc, s19, v1
	s_nop 0
	v_cndmask_b32_e64 v12, 0, -1, s[2:3]
	v_cmp_le_u32_e64 s[2:3], s18, v11
	s_nop 1
	v_cndmask_b32_e64 v11, 0, -1, s[2:3]
	v_cmp_eq_u32_e64 s[2:3], s19, v5
	s_nop 1
	v_cndmask_b32_e64 v5, v12, v11, s[2:3]
	v_lshl_add_u64 v[12:13], v[8:9], 0, 2
	v_cmp_ne_u32_e64 s[2:3], 0, v5
	v_cndmask_b32_e64 v11, 0, -1, vcc
	v_cmp_le_u32_e32 vcc, s18, v16
	v_cndmask_b32_e64 v5, v15, v13, s[2:3]
	s_nop 0
	v_cndmask_b32_e64 v13, 0, -1, vcc
	v_cmp_eq_u32_e32 vcc, s19, v1
	s_nop 1
	v_cndmask_b32_e32 v1, v11, v13, vcc
	v_cmp_ne_u32_e32 vcc, 0, v1
	v_cndmask_b32_e64 v1, v14, v12, s[2:3]
	s_nop 0
	v_cndmask_b32_e32 v9, v9, v5, vcc
	v_cndmask_b32_e32 v8, v8, v1, vcc
.LBB0_4:                                ;   in Loop: Header=BB0_2 Depth=1
	s_andn2_saveexec_b64 s[2:3], s[20:21]
	s_cbranch_execz .LBB0_6
; %bb.5:                                ;   in Loop: Header=BB0_2 Depth=1
	v_cvt_f32_u32_e32 v1, s18
	s_sub_i32 s20, 0, s18
	v_rcp_iflag_f32_e32 v1, v1
	s_nop 0
	v_mul_f32_e32 v1, 0x4f7ffffe, v1
	v_cvt_u32_f32_e32 v1, v1
	v_mul_lo_u32 v5, s20, v1
	v_mul_hi_u32 v5, v1, v5
	v_add_u32_e32 v1, v1, v5
	v_mul_hi_u32 v1, v6, v1
	v_mul_lo_u32 v5, v1, s18
	v_sub_u32_e32 v5, v6, v5
	v_add_u32_e32 v8, 1, v1
	v_subrev_u32_e32 v9, s18, v5
	v_cmp_le_u32_e32 vcc, s18, v5
	s_nop 1
	v_cndmask_b32_e32 v5, v5, v9, vcc
	v_cndmask_b32_e32 v1, v1, v8, vcc
	v_add_u32_e32 v8, 1, v1
	v_cmp_le_u32_e32 vcc, s18, v5
	v_mov_b32_e32 v9, v4
	s_nop 0
	v_cndmask_b32_e32 v8, v1, v8, vcc
.LBB0_6:                                ;   in Loop: Header=BB0_2 Depth=1
	s_or_b64 exec, exec, s[2:3]
	v_mad_u64_u32 v[12:13], s[2:3], v8, s18, 0
	s_load_dwordx2 s[2:3], s[12:13], 0x0
	v_mul_lo_u32 v1, v9, s18
	v_mul_lo_u32 v5, v8, s19
	v_add3_u32 v1, v13, v5, v1
	v_sub_co_u32_e32 v5, vcc, v6, v12
	s_add_u32 s14, s14, 1
	s_nop 0
	v_subb_co_u32_e32 v1, vcc, v7, v1, vcc
	s_addc_u32 s15, s15, 0
	s_waitcnt lgkmcnt(0)
	v_mul_lo_u32 v1, s2, v1
	v_mul_lo_u32 v6, s3, v5
	v_mad_u64_u32 v[2:3], s[2:3], s2, v5, v[2:3]
	s_add_u32 s12, s12, 8
	v_add3_u32 v3, v6, v3, v1
	s_addc_u32 s13, s13, 0
	v_mov_b64_e32 v[6:7], s[6:7]
	s_add_u32 s16, s16, 8
	v_cmp_ge_u64_e32 vcc, s[14:15], v[6:7]
	s_addc_u32 s17, s17, 0
	s_cbranch_vccnz .LBB0_9
; %bb.7:                                ;   in Loop: Header=BB0_2 Depth=1
	v_mov_b64_e32 v[6:7], v[8:9]
	s_branch .LBB0_2
.LBB0_8:
	v_mov_b64_e32 v[8:9], v[6:7]
.LBB0_9:
	s_lshl_b64 s[2:3], s[6:7], 3
	s_add_u32 s2, s10, s2
	s_addc_u32 s3, s11, s3
	s_load_dwordx2 s[6:7], s[2:3], 0x0
	s_load_dwordx2 s[10:11], s[0:1], 0x20
                                        ; implicit-def: $vgpr15
                                        ; implicit-def: $vgpr11
                                        ; implicit-def: $vgpr14
                                        ; implicit-def: $vgpr7
                                        ; implicit-def: $vgpr13
                                        ; implicit-def: $vgpr6
                                        ; implicit-def: $vgpr12
	s_waitcnt lgkmcnt(0)
	v_mad_u64_u32 v[2:3], s[0:1], s6, v8, v[2:3]
	v_mul_lo_u32 v1, s6, v9
	v_mul_lo_u32 v4, s7, v8
	s_mov_b32 s0, 0x2e8ba2f
	v_add3_u32 v3, v4, v3, v1
	v_mul_hi_u32 v1, v0, s0
	v_mul_u32_u24_e32 v1, 0x58, v1
	v_cmp_gt_u64_e32 vcc, s[10:11], v[8:9]
	v_sub_u32_e32 v0, v0, v1
	v_mov_b32_e32 v1, 0
	v_lshl_add_u64 v[2:3], v[2:3], 2, s[8:9]
                                        ; implicit-def: $vgpr8
                                        ; implicit-def: $vgpr9
	s_and_saveexec_b64 s[2:3], vcc
	s_cbranch_execz .LBB0_13
; %bb.10:
	v_mov_b32_e32 v1, 0
	v_lshl_add_u64 v[4:5], v[0:1], 2, v[2:3]
	global_load_dword v11, v[4:5], off
	global_load_dword v7, v[4:5], off offset:352
	global_load_dword v6, v[4:5], off offset:704
	global_load_dword v13, v[4:5], off offset:1936
	global_load_dword v12, v[4:5], off offset:2288
	global_load_dword v9, v[4:5], off offset:2640
	global_load_dword v14, v[4:5], off offset:1584
	global_load_dword v8, v[4:5], off offset:1056
	v_cmp_gt_u32_e64 s[0:1], 44, v0
                                        ; implicit-def: $vgpr15
	s_and_saveexec_b64 s[6:7], s[0:1]
	s_cbranch_execz .LBB0_12
; %bb.11:
	global_load_dword v1, v[4:5], off offset:1408
	global_load_dword v15, v[4:5], off offset:2992
.LBB0_12:
	s_or_b64 exec, exec, s[6:7]
.LBB0_13:
	s_or_b64 exec, exec, s[2:3]
	v_and_b32_e32 v4, 1, v10
	s_waitcnt vmcnt(1)
	v_pk_add_f16 v14, v11, v14 neg_lo:[0,1] neg_hi:[0,1]
	v_mov_b32_e32 v5, 0x318
	v_cmp_eq_u32_e64 s[0:1], 1, v4
	v_lshrrev_b32_e32 v10, 16, v11
	s_waitcnt vmcnt(0)
	v_pk_add_f16 v19, v1, v15 neg_lo:[0,1] neg_hi:[0,1]
	v_lshrrev_b32_e32 v15, 16, v14
	v_cndmask_b32_e64 v5, 0, v5, s[0:1]
	v_fma_f16 v10, v10, 2.0, -v15
	v_pk_fma_f16 v18, v1, 2.0, v19 op_sel_hi:[1,0,1] neg_lo:[0,0,1] neg_hi:[0,0,1]
	v_lshl_add_u32 v4, v0, 3, 0
	v_lshlrev_b32_e32 v1, 2, v5
	v_fma_f16 v11, v11, 2.0, -v14
	v_lshlrev_b32_e32 v10, 16, v10
	v_add_u32_e32 v5, v4, v1
	v_or_b32_sdwa v10, v10, v11 dst_sel:DWORD dst_unused:UNUSED_PAD src0_sel:DWORD src1_sel:WORD_0
	v_add_u32_e32 v11, 0x58, v0
	ds_write2_b32 v5, v10, v14 offset1:1
	v_lshlrev_b32_e32 v5, 3, v11
	v_pk_add_f16 v10, v7, v13 neg_lo:[0,1] neg_hi:[0,1]
	v_add3_u32 v5, 0, v5, v1
	v_pk_fma_f16 v7, v7, 2.0, v10 op_sel_hi:[1,0,1] neg_lo:[0,0,1] neg_hi:[0,0,1]
	ds_write2_b32 v5, v7, v10 offset1:1
	v_add_u32_e32 v10, 0xb0, v0
	v_lshlrev_b32_e32 v5, 3, v10
	v_pk_add_f16 v7, v6, v12 neg_lo:[0,1] neg_hi:[0,1]
	v_add3_u32 v5, 0, v5, v1
	v_pk_fma_f16 v6, v6, 2.0, v7 op_sel_hi:[1,0,1] neg_lo:[0,0,1] neg_hi:[0,0,1]
	v_add_u32_e32 v17, 0x108, v0
	ds_write2_b32 v5, v6, v7 offset1:1
	v_lshlrev_b32_e32 v5, 3, v17
	v_pk_add_f16 v6, v8, v9 neg_lo:[0,1] neg_hi:[0,1]
	v_add3_u32 v5, 0, v5, v1
	v_pk_fma_f16 v7, v8, 2.0, v6 op_sel_hi:[1,0,1] neg_lo:[0,0,1] neg_hi:[0,0,1]
	v_add_u32_e32 v20, 0x160, v0
	v_cmp_gt_u32_e64 s[0:1], 44, v0
	ds_write2_b32 v5, v7, v6 offset1:1
	s_and_saveexec_b64 s[2:3], s[0:1]
	s_cbranch_execz .LBB0_15
; %bb.14:
	v_lshlrev_b32_e32 v5, 3, v20
	v_add3_u32 v5, 0, v5, v1
	ds_write2_b32 v5, v18, v19 offset1:1
.LBB0_15:
	s_or_b64 exec, exec, s[2:3]
	v_lshlrev_b32_e32 v5, 2, v0
	v_sub_u32_e32 v4, v4, v5
	v_add_u32_e32 v14, v4, v1
	v_add_u32_e32 v4, 0x400, v14
	;; [unrolled: 1-line block ×3, first 2 shown]
	s_waitcnt lgkmcnt(0)
	s_barrier
	v_add3_u32 v15, 0, v1, v5
	ds_read2_b32 v[6:7], v4 offset0:8 offset1:140
	ds_read2_b32 v[4:5], v14 offset0:88 offset1:176
	;; [unrolled: 1-line block ×3, first 2 shown]
	ds_read_b32 v23, v15
	ds_read_b32 v21, v14 offset:2640
	v_lshlrev_b32_e32 v12, 1, v0
	v_lshlrev_b32_e32 v13, 1, v11
	;; [unrolled: 1-line block ×4, first 2 shown]
	s_and_saveexec_b64 s[2:3], s[0:1]
	s_cbranch_execz .LBB0_17
; %bb.16:
	ds_read_b32 v18, v14 offset:1408
	ds_read_b32 v19, v14 offset:2992
.LBB0_17:
	s_or_b64 exec, exec, s[2:3]
	v_and_b32_e32 v24, 1, v0
	v_lshlrev_b32_e32 v22, 2, v24
	global_load_dword v22, v22, s[4:5]
	s_waitcnt lgkmcnt(0)
	v_lshrrev_b32_e32 v26, 16, v19
	s_movk_i32 s2, 0xfc
	s_mov_b32 s7, 0xffff
	v_lshrrev_b32_e32 v25, 16, v18
	s_movk_i32 s3, 0x1fc
	s_movk_i32 s6, 0x3fc
	v_and_or_b32 v27, v12, s2, v24
	v_and_or_b32 v28, v13, s3, v24
	;; [unrolled: 1-line block ×4, first 2 shown]
	v_lshlrev_b32_e32 v27, 2, v27
	v_lshlrev_b32_e32 v28, 2, v28
	;; [unrolled: 1-line block ×4, first 2 shown]
	v_add3_u32 v27, 0, v27, v1
	v_lshlrev_b32_e32 v20, 1, v20
	s_barrier
	v_add3_u32 v28, 0, v28, v1
	v_add3_u32 v29, 0, v29, v1
	;; [unrolled: 1-line block ×3, first 2 shown]
	s_waitcnt vmcnt(0)
	v_pk_mul_f16 v31, v22, v21 op_sel:[0,1]
	v_pk_mul_f16 v35, v22, v7 op_sel:[0,1]
	v_mul_f16_e32 v32, v19, v22
	v_lshrrev_b32_e32 v33, 16, v22
	v_mul_f16_e32 v34, v26, v22
	v_pk_mul_f16 v36, v22, v8 op_sel:[0,1]
	v_pk_mul_f16 v37, v22, v9 op_sel:[0,1]
	v_pk_fma_f16 v38, v22, v21, v31 op_sel:[0,0,1] op_sel_hi:[1,1,0]
	v_pk_fma_f16 v21, v22, v21, v31 op_sel:[0,0,1] op_sel_hi:[1,0,0] neg_lo:[1,0,0] neg_hi:[1,0,0]
	v_pk_fma_f16 v31, v22, v7, v35 op_sel:[0,0,1] op_sel_hi:[1,1,0]
	v_pk_fma_f16 v7, v22, v7, v35 op_sel:[0,0,1] op_sel_hi:[1,0,0] neg_lo:[1,0,0] neg_hi:[1,0,0]
	v_fma_f16 v26, v26, v33, v32
	v_fma_f16 v19, -v19, v33, v34
	v_pk_fma_f16 v32, v22, v8, v36 op_sel:[0,0,1] op_sel_hi:[1,1,0]
	v_pk_fma_f16 v8, v22, v8, v36 op_sel:[0,0,1] op_sel_hi:[1,0,0] neg_lo:[1,0,0] neg_hi:[1,0,0]
	v_pk_fma_f16 v33, v22, v9, v37 op_sel:[0,0,1] op_sel_hi:[1,1,0]
	v_pk_fma_f16 v9, v22, v9, v37 op_sel:[0,0,1] op_sel_hi:[1,0,0] neg_lo:[1,0,0] neg_hi:[1,0,0]
	v_bfi_b32 v7, s7, v31, v7
	v_bfi_b32 v34, s7, v38, v21
	v_sub_f16_e32 v21, v18, v26
	v_sub_f16_e32 v22, v25, v19
	v_bfi_b32 v8, s7, v32, v8
	v_bfi_b32 v9, s7, v33, v9
	v_pk_add_f16 v7, v23, v7 neg_lo:[0,1] neg_hi:[0,1]
	v_pk_add_f16 v26, v6, v34 neg_lo:[0,1] neg_hi:[0,1]
	v_fma_f16 v18, v18, 2.0, -v21
	v_fma_f16 v19, v25, 2.0, -v22
	v_pk_add_f16 v8, v4, v8 neg_lo:[0,1] neg_hi:[0,1]
	v_pk_add_f16 v9, v5, v9 neg_lo:[0,1] neg_hi:[0,1]
	v_pk_fma_f16 v23, v23, 2.0, v7 op_sel_hi:[1,0,1] neg_lo:[0,0,1] neg_hi:[0,0,1]
	v_pk_fma_f16 v6, v6, 2.0, v26 op_sel_hi:[1,0,1] neg_lo:[0,0,1] neg_hi:[0,0,1]
	;; [unrolled: 1-line block ×4, first 2 shown]
	ds_write2_b32 v27, v23, v7 offset1:2
	ds_write2_b32 v28, v4, v8 offset1:2
	;; [unrolled: 1-line block ×4, first 2 shown]
	s_and_saveexec_b64 s[2:3], s[0:1]
	s_cbranch_execz .LBB0_19
; %bb.18:
	v_and_or_b32 v4, v20, s6, v24
	v_lshlrev_b32_e32 v4, 2, v4
	s_mov_b32 s6, 0x5040100
	v_add3_u32 v4, 0, v4, v1
	v_perm_b32 v5, v19, v18, s6
	v_perm_b32 v6, v22, v21, s6
	ds_write2_b32 v4, v5, v6 offset1:2
.LBB0_19:
	s_or_b64 exec, exec, s[2:3]
	v_add_u32_e32 v4, 0x400, v14
	s_waitcnt lgkmcnt(0)
	s_barrier
	ds_read2_b32 v[8:9], v4 offset0:8 offset1:140
	ds_read2_b32 v[6:7], v14 offset0:88 offset1:176
	v_add_u32_e32 v4, 0x600, v14
	ds_read2_b32 v[4:5], v4 offset0:100 offset1:188
	ds_read_b32 v23, v15
	ds_read_b32 v25, v14 offset:2640
	s_and_saveexec_b64 s[2:3], s[0:1]
	s_cbranch_execz .LBB0_21
; %bb.20:
	ds_read_b32 v18, v14 offset:1408
	ds_read_b32 v21, v14 offset:2992
	s_waitcnt lgkmcnt(1)
	v_lshrrev_b32_e32 v19, 16, v18
	s_waitcnt lgkmcnt(0)
	v_lshrrev_b32_e32 v22, 16, v21
.LBB0_21:
	s_or_b64 exec, exec, s[2:3]
	v_and_b32_e32 v24, 3, v0
	v_lshlrev_b32_e32 v26, 2, v24
	global_load_dword v26, v26, s[4:5] offset:8
	s_movk_i32 s7, 0x3f8
	v_and_or_b32 v16, v16, s7, v24
	v_lshlrev_b32_e32 v16, 2, v16
	v_add3_u32 v27, 0, v16, v1
	s_movk_i32 s2, 0xf8
	s_mov_b32 s6, 0xffff
	s_movk_i32 s3, 0x1f8
	v_and_or_b32 v12, v12, s2, v24
	v_and_or_b32 v13, v13, s3, v24
	;; [unrolled: 1-line block ×3, first 2 shown]
	v_lshlrev_b32_e32 v12, 2, v12
	v_lshlrev_b32_e32 v13, 2, v13
	;; [unrolled: 1-line block ×3, first 2 shown]
	v_add3_u32 v12, 0, v12, v1
	s_waitcnt lgkmcnt(0)
	s_barrier
	v_add3_u32 v13, 0, v13, v1
	v_add3_u32 v17, 0, v17, v1
	s_waitcnt vmcnt(0)
	v_pk_mul_f16 v16, v26, v25 op_sel:[0,1]
	v_pk_mul_f16 v30, v26, v9 op_sel:[0,1]
	v_mul_f16_sdwa v28, v22, v26 dst_sel:DWORD dst_unused:UNUSED_PAD src0_sel:DWORD src1_sel:WORD_1
	v_mul_f16_sdwa v29, v21, v26 dst_sel:DWORD dst_unused:UNUSED_PAD src0_sel:DWORD src1_sel:WORD_1
	v_pk_mul_f16 v31, v26, v4 op_sel:[0,1]
	v_pk_mul_f16 v32, v26, v5 op_sel:[0,1]
	v_pk_fma_f16 v33, v26, v25, v16 op_sel:[0,0,1] op_sel_hi:[1,1,0]
	v_pk_fma_f16 v16, v26, v25, v16 op_sel:[0,0,1] op_sel_hi:[1,0,0] neg_lo:[1,0,0] neg_hi:[1,0,0]
	v_pk_fma_f16 v25, v26, v9, v30 op_sel:[0,0,1] op_sel_hi:[1,1,0]
	v_pk_fma_f16 v9, v26, v9, v30 op_sel:[0,0,1] op_sel_hi:[1,0,0] neg_lo:[1,0,0] neg_hi:[1,0,0]
	v_fma_f16 v21, v21, v26, v28
	v_fma_f16 v22, v22, v26, -v29
	v_pk_fma_f16 v28, v26, v4, v31 op_sel:[0,0,1] op_sel_hi:[1,1,0]
	v_pk_fma_f16 v29, v26, v4, v31 op_sel:[0,0,1] op_sel_hi:[1,0,0] neg_lo:[1,0,0] neg_hi:[1,0,0]
	v_pk_fma_f16 v30, v26, v5, v32 op_sel:[0,0,1] op_sel_hi:[1,1,0]
	v_pk_fma_f16 v5, v26, v5, v32 op_sel:[0,0,1] op_sel_hi:[1,0,0] neg_lo:[1,0,0] neg_hi:[1,0,0]
	v_bfi_b32 v9, s6, v25, v9
	v_bfi_b32 v26, s6, v33, v16
	v_sub_f16_e32 v4, v18, v21
	v_bfi_b32 v21, s6, v28, v29
	v_bfi_b32 v5, s6, v30, v5
	v_pk_add_f16 v9, v23, v9 neg_lo:[0,1] neg_hi:[0,1]
	v_sub_f16_e32 v16, v19, v22
	v_pk_add_f16 v22, v8, v26 neg_lo:[0,1] neg_hi:[0,1]
	v_pk_add_f16 v21, v6, v21 neg_lo:[0,1] neg_hi:[0,1]
	;; [unrolled: 1-line block ×3, first 2 shown]
	v_pk_fma_f16 v23, v23, 2.0, v9 op_sel_hi:[1,0,1] neg_lo:[0,0,1] neg_hi:[0,0,1]
	v_pk_fma_f16 v8, v8, 2.0, v22 op_sel_hi:[1,0,1] neg_lo:[0,0,1] neg_hi:[0,0,1]
	;; [unrolled: 1-line block ×4, first 2 shown]
	ds_write2_b32 v12, v23, v9 offset1:4
	ds_write2_b32 v13, v6, v21 offset1:4
	;; [unrolled: 1-line block ×4, first 2 shown]
	s_and_saveexec_b64 s[2:3], s[0:1]
	s_cbranch_execz .LBB0_23
; %bb.22:
	v_and_or_b32 v7, v20, s7, v24
	v_fma_f16 v5, v18, 2.0, -v4
	v_fma_f16 v6, v19, 2.0, -v16
	v_lshlrev_b32_e32 v7, 2, v7
	s_mov_b32 s0, 0x5040100
	v_add3_u32 v7, 0, v7, v1
	v_pack_b32_f16 v5, v5, v6
	v_perm_b32 v6, v16, v4, s0
	ds_write2_b32 v7, v5, v6 offset1:4
.LBB0_23:
	s_or_b64 exec, exec, s[2:3]
	v_and_b32_e32 v17, 7, v0
	v_lshlrev_b32_e32 v5, 3, v17
	s_waitcnt lgkmcnt(0)
	s_barrier
	global_load_dwordx2 v[6:7], v5, s[4:5] offset:24
	v_add_u32_e32 v18, 0x400, v14
	ds_read_b32 v24, v15
	v_add_u32_e32 v19, 0x600, v14
	ds_read2_b32 v[8:9], v14 offset0:88 offset1:176
	v_add_u32_e32 v5, 0x800, v14
	ds_read2_b32 v[12:13], v18 offset0:8 offset1:96
	ds_read2_b32 v[20:21], v19 offset0:56 offset1:144
	;; [unrolled: 1-line block ×3, first 2 shown]
	s_mov_b32 s0, 0xbaee
	s_movk_i32 s1, 0x3aee
	s_waitcnt lgkmcnt(2)
	v_lshrrev_b32_e32 v28, 16, v12
	s_waitcnt lgkmcnt(1)
	v_lshrrev_b32_e32 v29, 16, v21
	v_lshrrev_b32_e32 v30, 16, v13
	s_waitcnt lgkmcnt(0)
	v_lshrrev_b32_e32 v31, 16, v22
	v_lshrrev_b32_e32 v32, 16, v20
	;; [unrolled: 1-line block ×6, first 2 shown]
	s_barrier
	s_movk_i32 s2, 0xab
	s_mov_b32 s3, 0x7060302
	s_waitcnt vmcnt(0)
	v_mul_f16_sdwa v34, v6, v28 dst_sel:DWORD dst_unused:UNUSED_PAD src0_sel:WORD_1 src1_sel:DWORD
	v_mul_f16_sdwa v35, v6, v12 dst_sel:DWORD dst_unused:UNUSED_PAD src0_sel:WORD_1 src1_sel:DWORD
	v_mul_f16_sdwa v36, v7, v29 dst_sel:DWORD dst_unused:UNUSED_PAD src0_sel:WORD_1 src1_sel:DWORD
	v_mul_f16_sdwa v37, v7, v21 dst_sel:DWORD dst_unused:UNUSED_PAD src0_sel:WORD_1 src1_sel:DWORD
	v_mul_f16_sdwa v38, v6, v30 dst_sel:DWORD dst_unused:UNUSED_PAD src0_sel:WORD_1 src1_sel:DWORD
	v_mul_f16_sdwa v39, v6, v13 dst_sel:DWORD dst_unused:UNUSED_PAD src0_sel:WORD_1 src1_sel:DWORD
	v_mul_f16_sdwa v40, v7, v31 dst_sel:DWORD dst_unused:UNUSED_PAD src0_sel:WORD_1 src1_sel:DWORD
	v_mul_f16_sdwa v41, v7, v22 dst_sel:DWORD dst_unused:UNUSED_PAD src0_sel:WORD_1 src1_sel:DWORD
	v_mul_f16_sdwa v42, v6, v32 dst_sel:DWORD dst_unused:UNUSED_PAD src0_sel:WORD_1 src1_sel:DWORD
	v_mul_f16_sdwa v43, v6, v20 dst_sel:DWORD dst_unused:UNUSED_PAD src0_sel:WORD_1 src1_sel:DWORD
	v_mul_f16_sdwa v44, v7, v33 dst_sel:DWORD dst_unused:UNUSED_PAD src0_sel:WORD_1 src1_sel:DWORD
	v_mul_f16_sdwa v45, v7, v23 dst_sel:DWORD dst_unused:UNUSED_PAD src0_sel:WORD_1 src1_sel:DWORD
	v_fma_f16 v12, v6, v12, v34
	v_fma_f16 v28, v6, v28, -v35
	v_fma_f16 v21, v7, v21, v36
	v_fma_f16 v29, v7, v29, -v37
	;; [unrolled: 2-line block ×6, first 2 shown]
	v_sub_f16_e32 v42, v6, v7
	v_add_f16_e32 v43, v27, v6
	v_add_f16_e32 v6, v6, v7
	v_sub_f16_e32 v38, v30, v31
	v_add_f16_e32 v39, v26, v30
	v_add_f16_e32 v30, v30, v31
	;; [unrolled: 1-line block ×4, first 2 shown]
	v_fma_f16 v6, v6, -0.5, v27
	v_sub_f16_e32 v20, v20, v23
	v_fma_f16 v26, v30, -0.5, v26
	v_add_f16_e32 v30, v40, v23
	v_fma_f16 v23, v20, s1, v6
	v_fma_f16 v6, v20, s0, v6
	v_lshrrev_b32_e32 v20, 3, v0
	v_add_f16_e32 v33, v12, v21
	v_sub_f16_e32 v34, v28, v29
	v_add_f16_e32 v35, v25, v28
	v_add_f16_e32 v28, v28, v29
	v_mul_u32_u24_e32 v20, 24, v20
	v_add_f16_e32 v32, v24, v12
	v_sub_f16_e32 v12, v12, v21
	v_fma_f16 v24, v33, -0.5, v24
	v_fma_f16 v25, v28, -0.5, v25
	v_or_b32_e32 v20, v20, v17
	v_add_f16_e32 v21, v32, v21
	v_add_f16_e32 v28, v39, v31
	v_fma_f16 v31, v34, s0, v24
	v_fma_f16 v24, v34, s1, v24
	;; [unrolled: 1-line block ×4, first 2 shown]
	v_lshlrev_b32_e32 v20, 2, v20
	v_add3_u32 v20, 0, v20, v1
	v_pack_b32_f16 v12, v24, v12
	ds_write_b32 v20, v12 offset:64
	v_lshrrev_b32_e32 v12, 3, v11
	v_add_f16_e32 v37, v13, v22
	v_mul_u32_u24_e32 v12, 24, v12
	v_add_f16_e32 v36, v8, v13
	v_sub_f16_e32 v13, v13, v22
	v_fma_f16 v8, v37, -0.5, v8
	v_or_b32_e32 v12, v12, v17
	v_add_f16_e32 v29, v35, v29
	v_fma_f16 v25, v38, s0, v8
	v_fma_f16 v8, v38, s1, v8
	;; [unrolled: 1-line block ×4, first 2 shown]
	v_lshlrev_b32_e32 v12, 2, v12
	v_pack_b32_f16 v21, v21, v29
	v_pack_b32_f16 v27, v31, v32
	v_add3_u32 v12, 0, v12, v1
	v_pack_b32_f16 v8, v8, v13
	ds_write2_b32 v20, v21, v27 offset1:8
	ds_write_b32 v12, v8 offset:64
	v_lshrrev_b32_e32 v8, 3, v10
	v_mul_u32_u24_e32 v8, 24, v8
	v_fma_f16 v9, v41, -0.5, v9
	v_or_b32_e32 v8, v8, v17
	v_add_f16_e32 v22, v36, v22
	v_fma_f16 v26, v42, s0, v9
	v_fma_f16 v9, v42, s1, v9
	v_lshlrev_b32_e32 v8, 2, v8
	v_pack_b32_f16 v20, v22, v28
	v_pack_b32_f16 v21, v25, v33
	v_add3_u32 v8, 0, v8, v1
	v_pack_b32_f16 v6, v9, v6
	v_add_f16_e32 v7, v43, v7
	ds_write2_b32 v12, v20, v21 offset1:8
	ds_write_b32 v8, v6 offset:64
	v_mul_lo_u16_sdwa v6, v0, s2 dst_sel:DWORD dst_unused:UNUSED_PAD src0_sel:BYTE_0 src1_sel:DWORD
	v_pack_b32_f16 v7, v30, v7
	v_pack_b32_f16 v12, v26, v23
	v_lshrrev_b16_e32 v17, 12, v6
	ds_write2_b32 v8, v7, v12 offset1:8
	v_mul_lo_u16_e32 v6, 24, v17
	v_mul_lo_u16_sdwa v7, v11, s2 dst_sel:DWORD dst_unused:UNUSED_PAD src0_sel:BYTE_0 src1_sel:DWORD
	v_sub_u16_e32 v26, v0, v6
	v_mov_b32_e32 v8, 3
	v_lshrrev_b16_e32 v28, 12, v7
	v_lshlrev_b32_sdwa v6, v8, v26 dst_sel:DWORD dst_unused:UNUSED_PAD src0_sel:DWORD src1_sel:BYTE_0
	v_mul_lo_u16_e32 v9, 24, v28
	s_waitcnt lgkmcnt(0)
	s_barrier
	global_load_dwordx2 v[6:7], v6, s[4:5] offset:88
	v_sub_u16_e32 v29, v11, v9
	v_lshlrev_b32_sdwa v8, v8, v29 dst_sel:DWORD dst_unused:UNUSED_PAD src0_sel:DWORD src1_sel:BYTE_0
	global_load_dwordx2 v[8:9], v8, s[4:5] offset:88
	s_mov_b32 s2, 0xaaab
	v_mul_u32_u24_sdwa v11, v10, s2 dst_sel:DWORD dst_unused:UNUSED_PAD src0_sel:WORD_0 src1_sel:DWORD
	v_lshrrev_b32_e32 v30, 20, v11
	v_mul_lo_u16_e32 v11, 24, v30
	v_sub_u16_e32 v31, v10, v11
	v_lshlrev_b32_e32 v10, 3, v31
	global_load_dwordx2 v[10:11], v10, s[4:5] offset:88
	ds_read2_b32 v[12:13], v14 offset0:88 offset1:176
	ds_read2_b32 v[20:21], v18 offset0:8 offset1:96
	;; [unrolled: 1-line block ×4, first 2 shown]
	s_mov_b32 s2, 0x5040100
	s_waitcnt lgkmcnt(3)
	v_lshrrev_b32_e32 v27, 16, v12
	s_waitcnt lgkmcnt(2)
	v_lshrrev_b32_e32 v36, 16, v21
	s_waitcnt lgkmcnt(1)
	v_alignbit_b32 v37, v22, v21, 16
	s_waitcnt lgkmcnt(0)
	v_perm_b32 v34, v25, v20, s2
	v_perm_b32 v35, v25, v20, s3
	v_lshrrev_b32_e32 v33, 16, v23
	v_lshrrev_b32_e32 v32, 16, v13
	s_waitcnt vmcnt(2)
	v_mul_f16_sdwa v38, v6, v20 dst_sel:DWORD dst_unused:UNUSED_PAD src0_sel:WORD_1 src1_sel:WORD_1
	v_perm_b32 v41, v7, v6, s3
	v_perm_b32 v40, v7, v6, s2
	v_fma_f16 v38, v6, v20, v38
	v_pk_mul_f16 v6, v41, v34
	v_mul_f16_sdwa v39, v7, v25 dst_sel:DWORD dst_unused:UNUSED_PAD src0_sel:WORD_1 src1_sel:WORD_1
	s_waitcnt vmcnt(1)
	v_alignbit_b32 v42, v9, v8, 16
	v_pk_fma_f16 v34, v40, v35, v6 neg_lo:[0,0,1] neg_hi:[0,0,1]
	v_bfi_b32 v6, s6, v21, v22
	v_fma_f16 v39, v7, v25, v39
	v_pk_mul_f16 v7, v42, v6
	v_lshrrev_b32_e32 v43, 16, v9
	v_fma_f16 v21, v8, v36, -v7
	v_bfi_b32 v8, s6, v8, v9
	v_pk_mul_f16 v6, v8, v6
	s_movk_i32 s2, 0x120
	v_pk_fma_f16 v9, v42, v37, v6
	v_lshrrev_b32_e32 v6, 16, v7
	v_fma_f16 v22, -v43, v22, v6
	s_waitcnt vmcnt(0)
	v_pk_mul_f16 v6, v10, v24
	v_lshrrev_b32_e32 v7, 16, v10
	v_add_f16_sdwa v25, v6, v6 dst_sel:DWORD dst_unused:UNUSED_PAD src0_sel:DWORD src1_sel:WORD_1
	v_mul_f16_sdwa v6, v10, v24 dst_sel:DWORD dst_unused:UNUSED_PAD src0_sel:DWORD src1_sel:WORD_1
	v_fma_f16 v35, -v7, v24, v6
	v_add_f16_sdwa v7, v9, v9 dst_sel:DWORD dst_unused:UNUSED_PAD src0_sel:DWORD src1_sel:WORD_1
	v_mul_f16_sdwa v6, v33, v11 dst_sel:DWORD dst_unused:UNUSED_PAD src0_sel:DWORD src1_sel:WORD_1
	v_fma_f16 v8, v7, -0.5, v12
	v_sub_f16_e32 v10, v21, v22
	v_fma_f16 v36, v23, v11, v6
	v_mul_f16_sdwa v6, v23, v11 dst_sel:DWORD dst_unused:UNUSED_PAD src0_sel:DWORD src1_sel:WORD_1
	v_fma_f16 v7, v10, s0, v8
	v_fma_f16 v8, v10, s1, v8
	v_add_f16_e32 v10, v27, v21
	v_fma_f16 v23, v33, v11, -v6
	v_add_f16_e32 v6, v12, v9
	v_add_f16_e32 v20, v10, v22
	;; [unrolled: 1-line block ×3, first 2 shown]
	v_add_f16_sdwa v6, v6, v9 dst_sel:DWORD dst_unused:UNUSED_PAD src0_sel:DWORD src1_sel:WORD_1
	v_fma_f16 v10, v10, -0.5, v27
	v_sub_f16_sdwa v9, v9, v9 dst_sel:DWORD dst_unused:UNUSED_PAD src0_sel:DWORD src1_sel:WORD_1
	v_fma_f16 v22, v9, s1, v10
	v_fma_f16 v21, v9, s0, v10
	v_add_f16_e32 v10, v25, v36
	v_fma_f16 v11, v10, -0.5, v13
	v_sub_f16_e32 v12, v35, v23
	ds_read_b32 v27, v15
	v_fma_f16 v10, v12, s0, v11
	v_fma_f16 v11, v12, s1, v11
	v_add_f16_e32 v12, v32, v35
	v_add_f16_e32 v24, v12, v23
	;; [unrolled: 1-line block ×4, first 2 shown]
	v_fma_f16 v12, v12, -0.5, v32
	v_sub_f16_e32 v13, v25, v36
	v_fma_f16 v25, v13, s1, v12
	v_fma_f16 v23, v13, s0, v12
	v_mad_u32_u24 v12, v17, s2, 0
	v_mov_b32_e32 v32, 2
	v_pack_b32_f16 v17, v38, v34
	v_lshlrev_b32_sdwa v13, v32, v26 dst_sel:DWORD dst_unused:UNUSED_PAD src0_sel:DWORD src1_sel:BYTE_0
	s_waitcnt lgkmcnt(0)
	v_pk_add_f16 v17, v27, v17
	v_bfi_b32 v26, s6, v39, v34
	v_add_f16_e32 v33, v38, v39
	v_add_f16_sdwa v40, v34, v34 dst_sel:DWORD dst_unused:UNUSED_PAD src0_sel:DWORD src1_sel:WORD_1
	v_pk_add_f16 v17, v17, v26
	v_lshrrev_b32_e32 v26, 16, v27
	v_sub_f16_sdwa v37, v34, v34 dst_sel:DWORD dst_unused:UNUSED_PAD src0_sel:DWORD src1_sel:WORD_1
	v_sub_f16_e32 v41, v38, v39
	v_add3_u32 v35, v12, v13, v1
	v_fma_f16 v13, v33, -0.5, v27
	v_fma_f16 v26, v40, -0.5, v26
	v_fma_f16 v12, v37, s0, v13
	v_fma_f16 v27, v41, s1, v26
	;; [unrolled: 1-line block ×4, first 2 shown]
	v_pack_b32_f16 v33, v12, v27
	v_mad_u32_u24 v28, v28, s2, 0
	v_lshlrev_b32_sdwa v29, v32, v29 dst_sel:DWORD dst_unused:UNUSED_PAD src0_sel:DWORD src1_sel:BYTE_0
	s_barrier
	ds_write2_b32 v35, v17, v33 offset1:24
	v_pack_b32_f16 v33, v13, v26
	v_add3_u32 v28, v28, v29, v1
	v_pack_b32_f16 v29, v6, v20
	v_pack_b32_f16 v32, v7, v22
	ds_write_b32 v35, v33 offset:192
	ds_write2_b32 v28, v29, v32 offset1:24
	v_pack_b32_f16 v29, v8, v21
	v_add_f16_e32 v9, v9, v36
	ds_write_b32 v28, v29 offset:192
	v_mad_u32_u24 v28, v30, s2, 0
	v_lshlrev_b32_e32 v29, 2, v31
	v_add3_u32 v1, v28, v29, v1
	v_pack_b32_f16 v28, v9, v24
	v_pack_b32_f16 v29, v10, v25
	ds_write2_b32 v1, v28, v29 offset1:24
	v_pack_b32_f16 v28, v11, v23
	s_movk_i32 s0, 0x48
	ds_write_b32 v1, v28 offset:192
	v_cmp_gt_u32_e64 s[0:1], s0, v0
	v_lshrrev_b32_e32 v1, 16, v17
	s_waitcnt lgkmcnt(0)
	s_barrier
	s_waitcnt lgkmcnt(0)
                                        ; implicit-def: $vgpr28
	s_and_saveexec_b64 s[2:3], s[0:1]
	s_cbranch_execnz .LBB0_26
; %bb.24:
	s_or_b64 exec, exec, s[2:3]
	s_and_b64 s[0:1], vcc, s[0:1]
	s_and_saveexec_b64 s[2:3], s[0:1]
	s_cbranch_execnz .LBB0_27
.LBB0_25:
	s_endpgm
.LBB0_26:
	v_add_u32_e32 v6, 0x200, v14
	ds_read_b32 v17, v15
	ds_read2_b32 v[12:13], v14 offset0:72 offset1:144
	ds_read2_b32 v[10:11], v19 offset0:120 offset1:192
	;; [unrolled: 1-line block ×5, first 2 shown]
	s_waitcnt lgkmcnt(5)
	v_lshrrev_b32_e32 v1, 16, v17
	s_waitcnt lgkmcnt(3)
	v_lshrrev_b32_e32 v23, 16, v11
	;; [unrolled: 2-line block ×3, first 2 shown]
	v_lshrrev_b32_e32 v28, 16, v5
	v_lshrrev_b32_e32 v27, 16, v12
	;; [unrolled: 1-line block ×3, first 2 shown]
	s_waitcnt lgkmcnt(1)
	v_lshrrev_b32_e32 v20, 16, v6
	v_lshrrev_b32_e32 v22, 16, v7
	s_waitcnt lgkmcnt(0)
	v_lshrrev_b32_e32 v21, 16, v8
	v_lshrrev_b32_e32 v24, 16, v9
	;; [unrolled: 1-line block ×3, first 2 shown]
	s_or_b64 exec, exec, s[2:3]
	s_and_b64 s[0:1], vcc, s[0:1]
	s_and_saveexec_b64 s[2:3], s[0:1]
	s_cbranch_execz .LBB0_25
.LBB0_27:
	v_mul_u32_u24_e32 v14, 10, v0
	v_lshlrev_b32_e32 v18, 2, v14
	global_load_dwordx4 v[30:33], v18, s[4:5] offset:280
	global_load_dwordx2 v[14:15], v18, s[4:5] offset:312
	global_load_dwordx4 v[34:37], v18, s[4:5] offset:296
	s_movk_i32 s1, 0x36a6
	s_mov_b32 s0, 0xb93d
	s_mov_b32 s2, 0xbbad
	;; [unrolled: 1-line block ×3, first 2 shown]
	s_movk_i32 s4, 0x3abb
	s_movk_i32 s5, 0x3853
	;; [unrolled: 1-line block ×3, first 2 shown]
	s_mov_b32 s8, 0xb853
	s_mov_b32 s7, 0xbbeb
	;; [unrolled: 1-line block ×3, first 2 shown]
	s_waitcnt vmcnt(2)
	v_mul_f16_sdwa v18, v27, v30 dst_sel:DWORD dst_unused:UNUSED_PAD src0_sel:DWORD src1_sel:WORD_1
	s_waitcnt vmcnt(1)
	v_mul_f16_sdwa v19, v28, v15 dst_sel:DWORD dst_unused:UNUSED_PAD src0_sel:DWORD src1_sel:WORD_1
	v_mul_f16_sdwa v29, v5, v15 dst_sel:DWORD dst_unused:UNUSED_PAD src0_sel:DWORD src1_sel:WORD_1
	;; [unrolled: 1-line block ×5, first 2 shown]
	s_waitcnt vmcnt(0)
	v_mul_f16_sdwa v45, v11, v37 dst_sel:DWORD dst_unused:UNUSED_PAD src0_sel:DWORD src1_sel:WORD_1
	v_mul_f16_sdwa v49, v10, v36 dst_sel:DWORD dst_unused:UNUSED_PAD src0_sel:DWORD src1_sel:WORD_1
	v_fma_f16 v12, v12, v30, v18
	v_fma_f16 v5, v5, v15, v19
	v_mul_f16_sdwa v41, v4, v14 dst_sel:DWORD dst_unused:UNUSED_PAD src0_sel:DWORD src1_sel:WORD_1
	v_mul_f16_sdwa v42, v13, v31 dst_sel:DWORD dst_unused:UNUSED_PAD src0_sel:DWORD src1_sel:WORD_1
	;; [unrolled: 1-line block ×5, first 2 shown]
	v_fma_f16 v15, v28, v15, -v29
	v_fma_f16 v18, v27, v30, -v38
	v_fma_f16 v13, v13, v31, v39
	v_fma_f16 v4, v4, v14, v40
	v_fma_f16 v19, v23, v37, -v45
	v_fma_f16 v23, v25, v36, -v49
	v_sub_f16_e32 v25, v12, v5
	v_mul_f16_sdwa v46, v6, v32 dst_sel:DWORD dst_unused:UNUSED_PAD src0_sel:DWORD src1_sel:WORD_1
	v_mul_f16_sdwa v47, v22, v33 dst_sel:DWORD dst_unused:UNUSED_PAD src0_sel:DWORD src1_sel:WORD_1
	;; [unrolled: 1-line block ×3, first 2 shown]
	v_fma_f16 v14, v16, v14, -v41
	v_fma_f16 v16, v26, v31, -v42
	v_fma_f16 v6, v6, v32, v43
	v_fma_f16 v11, v11, v37, v44
	v_add_f16_e32 v26, v18, v15
	v_sub_f16_e32 v27, v13, v4
	v_mul_f16_e32 v43, 0xbb47, v25
	v_mul_f16_sdwa v50, v7, v33 dst_sel:DWORD dst_unused:UNUSED_PAD src0_sel:DWORD src1_sel:WORD_1
	v_mul_f16_sdwa v52, v24, v35 dst_sel:DWORD dst_unused:UNUSED_PAD src0_sel:DWORD src1_sel:WORD_1
	;; [unrolled: 1-line block ×4, first 2 shown]
	v_fma_f16 v20, v20, v32, -v46
	v_fma_f16 v7, v7, v33, v47
	v_fma_f16 v10, v10, v36, v48
	;; [unrolled: 1-line block ×3, first 2 shown]
	v_add_f16_e32 v28, v16, v14
	v_sub_f16_e32 v29, v6, v11
	v_sub_f16_e32 v36, v18, v15
	v_mul_f16_e32 v44, 0xba0c, v27
	v_fma_f16 v51, v26, s1, v43
	v_fma_f16 v22, v22, v33, -v50
	v_fma_f16 v9, v9, v35, v52
	v_fma_f16 v24, v24, v35, -v53
	v_add_f16_e32 v30, v20, v19
	v_sub_f16_e32 v31, v7, v10
	v_add_f16_e32 v35, v12, v5
	v_sub_f16_e32 v38, v16, v14
	v_mul_f16_e32 v45, 0x3482, v29
	v_mul_f16_e32 v48, 0xbb47, v36
	v_fma_f16 v52, v28, s0, v44
	v_add_f16_e32 v51, v1, v51
	v_fma_f16 v21, v21, v34, -v54
	v_add_f16_e32 v32, v22, v23
	v_sub_f16_e32 v33, v8, v9
	v_add_f16_e32 v37, v13, v4
	v_sub_f16_e32 v40, v20, v19
	v_mul_f16_e32 v46, 0x3beb, v31
	v_mul_f16_e32 v49, 0xba0c, v38
	v_fma_f16 v53, v30, s2, v45
	v_fma_f16 v56, v35, s1, -v48
	v_add_f16_e32 v51, v51, v52
	v_add_f16_e32 v34, v21, v24
	v_add_f16_e32 v39, v6, v11
	v_sub_f16_e32 v42, v22, v23
	v_mul_f16_e32 v47, 0x3853, v33
	v_mul_f16_e32 v50, 0x3482, v40
	v_fma_f16 v54, v32, s3, v46
	v_fma_f16 v57, v37, s0, -v49
	v_add_f16_e32 v56, v17, v56
	v_add_f16_e32 v51, v51, v53
	;; [unrolled: 1-line block ×3, first 2 shown]
	v_fma_f16 v55, v34, s4, v47
	v_fma_f16 v58, v39, s2, -v50
	v_add_f16_e32 v52, v56, v57
	v_add_f16_e32 v51, v51, v54
	v_mul_f16_e32 v53, 0x3beb, v42
	v_add_f16_e32 v52, v52, v58
	v_add_f16_e32 v51, v51, v55
	v_fma_f16 v54, v41, s3, -v53
	v_sub_f16_e32 v55, v21, v24
	v_add_f16_e32 v52, v52, v54
	v_add_f16_e32 v54, v8, v9
	v_mul_f16_e32 v56, 0x3853, v55
	v_fma_f16 v57, v54, s4, -v56
	v_add_f16_e32 v52, v52, v57
	v_mul_f16_e32 v57, 0xbbeb, v25
	v_fma_f16 v58, v26, s3, v57
	v_mul_f16_e32 v59, 0x3482, v27
	v_add_f16_e32 v58, v1, v58
	v_fma_f16 v60, v28, s2, v59
	v_add_f16_e32 v58, v58, v60
	v_mul_f16_e32 v60, 0x3b47, v29
	v_fma_f16 v61, v30, s1, v60
	v_add_f16_e32 v58, v58, v61
	v_mul_f16_e32 v61, 0xb853, v31
	v_fma_f16 v62, v32, s4, v61
	v_add_f16_e32 v58, v58, v62
	v_mul_f16_e32 v62, 0xba0c, v33
	v_fma_f16 v63, v34, s0, v62
	v_add_f16_e32 v58, v58, v63
	v_mul_f16_e32 v63, 0xbbeb, v36
	v_fma_f16 v64, v35, s3, -v63
	v_mul_f16_e32 v65, 0x3482, v38
	v_add_f16_e32 v64, v17, v64
	v_fma_f16 v66, v37, s2, -v65
	v_add_f16_e32 v64, v64, v66
	v_mul_f16_e32 v66, 0x3b47, v40
	v_fma_f16 v67, v39, s1, -v66
	v_add_f16_e32 v64, v64, v67
	v_mul_f16_e32 v67, 0xb853, v42
	;; [unrolled: 3-line block ×4, first 2 shown]
	v_fma_f16 v70, v26, s0, v69
	v_mul_f16_e32 v71, 0x3beb, v27
	v_add_f16_e32 v70, v1, v70
	v_fma_f16 v72, v28, s3, v71
	v_add_f16_e32 v70, v70, v72
	v_mul_f16_e32 v72, 0xb853, v29
	v_fma_f16 v73, v30, s4, v72
	v_add_f16_e32 v70, v70, v73
	v_mul_f16_e32 v73, 0xb482, v31
	;; [unrolled: 3-line block ×4, first 2 shown]
	v_fma_f16 v76, v35, s0, -v75
	v_mul_f16_e32 v77, 0x3beb, v38
	v_add_f16_e32 v76, v17, v76
	v_fma_f16 v78, v37, s3, -v77
	v_add_f16_e32 v76, v76, v78
	v_mul_f16_e32 v78, 0xb853, v40
	v_fma_f16 v79, v39, s4, -v78
	v_fma_f16 v43, v26, s1, -v43
	v_add_f16_e32 v76, v76, v79
	v_mul_f16_e32 v79, 0xb482, v42
	v_add_f16_e32 v43, v1, v43
	v_fma_f16 v44, v28, s0, -v44
	v_fma_f16 v80, v41, s2, -v79
	v_add_f16_e32 v43, v43, v44
	v_fma_f16 v44, v30, s2, -v45
	v_add_f16_e32 v76, v76, v80
	v_mul_f16_e32 v80, 0x3b47, v55
	v_add_f16_e32 v43, v43, v44
	v_fma_f16 v44, v32, s3, -v46
	v_fma_f16 v81, v54, s1, -v80
	v_add_f16_e32 v43, v43, v44
	v_fma_f16 v44, v34, s4, -v47
	v_add_f16_e32 v76, v76, v81
	v_mul_f16_e32 v81, 0xb482, v25
	v_add_f16_e32 v43, v43, v44
	v_fma_f16 v44, v35, s1, v48
	v_fma_f16 v82, v26, s2, v81
	v_mul_f16_e32 v83, 0x3853, v27
	v_add_f16_e32 v44, v17, v44
	v_fma_f16 v45, v37, s0, v49
	v_add_f16_e32 v12, v17, v12
	v_add_f16_e32 v82, v1, v82
	v_fma_f16 v84, v28, s4, v83
	v_add_f16_e32 v44, v44, v45
	v_fma_f16 v45, v39, s2, v50
	v_add_f16_e32 v12, v12, v13
	v_add_f16_e32 v82, v82, v84
	v_mul_f16_e32 v84, 0xba0c, v29
	v_add_f16_e32 v44, v44, v45
	v_fma_f16 v45, v41, s3, v53
	v_add_f16_e32 v6, v12, v6
	v_fma_f16 v85, v30, s0, v84
	v_fma_f16 v81, v26, s2, -v81
	v_fma_f16 v69, v26, s0, -v69
	v_fma_f16 v57, v26, s3, -v57
	v_add_f16_e32 v44, v44, v45
	v_fma_f16 v45, v54, s4, v56
	v_mul_f16_e32 v26, 0x3abb, v26
	v_add_f16_e32 v6, v6, v7
	v_add_f16_e32 v82, v82, v85
	v_mul_f16_e32 v85, 0x3b47, v31
	v_add_f16_e32 v81, v1, v81
	v_fma_f16 v83, v28, s4, -v83
	v_add_f16_e32 v69, v1, v69
	v_fma_f16 v71, v28, s3, -v71
	;; [unrolled: 2-line block ×3, first 2 shown]
	v_add_f16_e32 v44, v44, v45
	v_fma_f16 v45, v25, s5, v26
	v_mul_f16_e32 v28, 0x36a6, v28
	v_add_f16_e32 v6, v6, v8
	v_fma_f16 v86, v32, s1, v85
	v_add_f16_e32 v81, v81, v83
	v_fma_f16 v83, v30, s0, -v84
	v_add_f16_e32 v69, v69, v71
	v_fma_f16 v71, v30, s4, -v72
	;; [unrolled: 2-line block ×3, first 2 shown]
	v_add_f16_e32 v45, v1, v45
	v_fma_f16 v46, v27, s6, v28
	s_movk_i32 s5, 0x3beb
	v_mul_f16_e32 v30, 0xb08e, v30
	v_add_f16_e32 v6, v6, v9
	v_add_f16_e32 v82, v82, v86
	v_mul_f16_e32 v86, 0xbbeb, v33
	v_add_f16_e32 v81, v81, v83
	v_fma_f16 v83, v32, s1, -v85
	v_add_f16_e32 v69, v69, v71
	v_fma_f16 v71, v32, s2, -v73
	v_add_f16_e32 v57, v57, v59
	v_fma_f16 v59, v32, s4, -v61
	v_add_f16_e32 v45, v45, v46
	v_fma_f16 v46, v29, s5, v30
	v_mul_f16_e32 v32, 0xb93d, v32
	s_movk_i32 s5, 0x3a0c
	v_add_f16_e32 v6, v10, v6
	v_fma_f16 v87, v34, s3, v86
	v_add_f16_e32 v81, v81, v83
	v_fma_f16 v83, v34, s3, -v86
	v_add_f16_e32 v69, v69, v71
	v_fma_f16 v71, v34, s1, -v74
	;; [unrolled: 2-line block ×3, first 2 shown]
	v_add_f16_e32 v45, v45, v46
	v_fma_f16 v46, v31, s5, v32
	s_movk_i32 s5, 0x3482
	v_mul_f16_e32 v34, 0xbbad, v34
	v_add_f16_e32 v6, v11, v6
	v_add_f16_e32 v45, v45, v46
	v_fma_f16 v46, v33, s5, v34
	s_mov_b32 s5, 0xbb47
	v_add_f16_e32 v4, v4, v6
	v_fma_f16 v6, v25, s8, v26
	v_add_f16_e32 v82, v82, v87
	v_mul_f16_e32 v87, 0xb482, v36
	v_add_f16_e32 v4, v5, v4
	v_add_f16_e32 v5, v1, v18
	;; [unrolled: 1-line block ×3, first 2 shown]
	v_fma_f16 v6, v27, s5, v28
	v_fma_f16 v88, v35, s2, -v87
	v_mul_f16_e32 v89, 0x3853, v38
	s_mov_b32 s6, 0xba0c
	v_add_f16_e32 v5, v5, v16
	v_add_f16_e32 v1, v1, v6
	v_fma_f16 v6, v29, s7, v30
	v_add_f16_e32 v88, v17, v88
	v_fma_f16 v90, v37, s4, -v89
	v_mul_f16_e32 v36, 0xb853, v36
	v_add_f16_e32 v5, v5, v20
	v_add_f16_e32 v1, v1, v6
	v_fma_f16 v6, v31, s6, v32
	v_add_f16_e32 v88, v88, v90
	v_mul_f16_e32 v90, 0xba0c, v40
	v_add_f16_e32 v45, v45, v46
	v_fma_f16 v46, v35, s4, v36
	v_mul_f16_e32 v38, 0xbb47, v38
	v_add_f16_e32 v5, v5, v22
	v_add_f16_e32 v1, v1, v6
	v_fma_f16 v6, v33, s9, v34
	v_fma_f16 v91, v39, s0, -v90
	v_add_f16_e32 v46, v17, v46
	v_fma_f16 v47, v37, s1, v38
	v_mul_f16_e32 v40, 0xbbeb, v40
	v_add_f16_e32 v5, v5, v21
	v_add_f16_e32 v6, v1, v6
	v_fma_f16 v1, v35, s4, -v36
	v_add_f16_e32 v88, v88, v91
	v_mul_f16_e32 v91, 0x3b47, v42
	v_add_f16_e32 v46, v46, v47
	v_fma_f16 v47, v39, s3, v40
	v_mul_f16_e32 v42, 0xba0c, v42
	v_add_f16_e32 v5, v5, v24
	v_add_f16_e32 v1, v17, v1
	v_fma_f16 v7, v37, s1, -v38
	v_add_f16_e32 v46, v46, v47
	v_fma_f16 v47, v41, s0, v42
	v_add_f16_e32 v5, v23, v5
	v_add_f16_e32 v1, v1, v7
	v_fma_f16 v7, v39, s3, -v40
	v_add_f16_e32 v57, v57, v59
	v_fma_f16 v59, v35, s3, v63
	v_add_f16_e32 v46, v46, v47
	v_mul_f16_e32 v47, 0xb482, v55
	v_add_f16_e32 v5, v19, v5
	v_add_f16_e32 v1, v1, v7
	v_fma_f16 v7, v41, s0, -v42
	v_add_f16_e32 v69, v69, v71
	v_fma_f16 v71, v35, s0, v75
	v_add_f16_e32 v59, v17, v59
	v_fma_f16 v60, v37, s2, v65
	v_add_f16_e32 v5, v14, v5
	v_add_f16_e32 v1, v1, v7
	v_fma_f16 v7, v54, s2, -v47
	v_add_f16_e32 v81, v81, v83
	v_fma_f16 v83, v35, s2, v87
	v_add_f16_e32 v71, v17, v71
	v_fma_f16 v72, v37, s3, v77
	;; [unrolled: 2-line block ×3, first 2 shown]
	v_fma_f16 v48, v54, s2, v47
	v_add_f16_e32 v5, v15, v5
	v_add_f16_e32 v7, v1, v7
	v_mov_b32_e32 v1, 0
	v_add_f16_e32 v83, v17, v83
	v_fma_f16 v84, v37, s4, v89
	v_add_f16_e32 v71, v71, v72
	v_fma_f16 v72, v39, s4, v78
	;; [unrolled: 2-line block ×3, first 2 shown]
	v_add_f16_e32 v46, v46, v48
	v_lshl_add_u64 v[0:1], v[0:1], 2, v[2:3]
	v_pack_b32_f16 v2, v4, v5
	v_fma_f16 v92, v41, s1, -v91
	v_add_f16_e32 v83, v83, v84
	v_fma_f16 v84, v39, s0, v90
	v_add_f16_e32 v71, v71, v72
	v_fma_f16 v72, v41, s2, v79
	;; [unrolled: 2-line block ×3, first 2 shown]
	global_store_dword v[0:1], v2, off
	v_pack_b32_f16 v2, v46, v45
	v_add_f16_e32 v88, v88, v92
	v_mul_f16_e32 v92, 0xbbeb, v55
	v_add_f16_e32 v83, v83, v84
	v_fma_f16 v84, v41, s1, v91
	v_add_f16_e32 v71, v71, v72
	v_fma_f16 v72, v54, s1, v80
	v_add_f16_e32 v59, v59, v60
	global_store_dword v[0:1], v2, off offset:288
	v_pack_b32_f16 v2, v44, v43
	v_add_f16_e32 v83, v83, v84
	v_fma_f16 v84, v54, s3, v92
	v_add_f16_e32 v71, v71, v72
	global_store_dword v[0:1], v2, off offset:576
	v_pack_b32_f16 v2, v59, v57
	v_fma_f16 v93, v54, s3, -v92
	v_add_f16_e32 v83, v83, v84
	global_store_dword v[0:1], v2, off offset:864
	v_pack_b32_f16 v2, v71, v69
	v_add_f16_e32 v88, v88, v93
	global_store_dword v[0:1], v2, off offset:1152
	v_pack_b32_f16 v2, v83, v81
	global_store_dword v[0:1], v2, off offset:1440
	v_pack_b32_f16 v2, v88, v82
	;; [unrolled: 2-line block ×6, first 2 shown]
	global_store_dword v[0:1], v2, off offset:2880
	s_endpgm
	.section	.rodata,"a",@progbits
	.p2align	6, 0x0
	.amdhsa_kernel fft_rtc_back_len792_factors_2_2_2_3_3_11_wgs_176_tpt_88_half_ip_CI_unitstride_sbrr_dirReg
		.amdhsa_group_segment_fixed_size 0
		.amdhsa_private_segment_fixed_size 0
		.amdhsa_kernarg_size 88
		.amdhsa_user_sgpr_count 2
		.amdhsa_user_sgpr_dispatch_ptr 0
		.amdhsa_user_sgpr_queue_ptr 0
		.amdhsa_user_sgpr_kernarg_segment_ptr 1
		.amdhsa_user_sgpr_dispatch_id 0
		.amdhsa_user_sgpr_kernarg_preload_length 0
		.amdhsa_user_sgpr_kernarg_preload_offset 0
		.amdhsa_user_sgpr_private_segment_size 0
		.amdhsa_uses_dynamic_stack 0
		.amdhsa_enable_private_segment 0
		.amdhsa_system_sgpr_workgroup_id_x 1
		.amdhsa_system_sgpr_workgroup_id_y 0
		.amdhsa_system_sgpr_workgroup_id_z 0
		.amdhsa_system_sgpr_workgroup_info 0
		.amdhsa_system_vgpr_workitem_id 0
		.amdhsa_next_free_vgpr 94
		.amdhsa_next_free_sgpr 22
		.amdhsa_accum_offset 96
		.amdhsa_reserve_vcc 1
		.amdhsa_float_round_mode_32 0
		.amdhsa_float_round_mode_16_64 0
		.amdhsa_float_denorm_mode_32 3
		.amdhsa_float_denorm_mode_16_64 3
		.amdhsa_dx10_clamp 1
		.amdhsa_ieee_mode 1
		.amdhsa_fp16_overflow 0
		.amdhsa_tg_split 0
		.amdhsa_exception_fp_ieee_invalid_op 0
		.amdhsa_exception_fp_denorm_src 0
		.amdhsa_exception_fp_ieee_div_zero 0
		.amdhsa_exception_fp_ieee_overflow 0
		.amdhsa_exception_fp_ieee_underflow 0
		.amdhsa_exception_fp_ieee_inexact 0
		.amdhsa_exception_int_div_zero 0
	.end_amdhsa_kernel
	.text
.Lfunc_end0:
	.size	fft_rtc_back_len792_factors_2_2_2_3_3_11_wgs_176_tpt_88_half_ip_CI_unitstride_sbrr_dirReg, .Lfunc_end0-fft_rtc_back_len792_factors_2_2_2_3_3_11_wgs_176_tpt_88_half_ip_CI_unitstride_sbrr_dirReg
                                        ; -- End function
	.section	.AMDGPU.csdata,"",@progbits
; Kernel info:
; codeLenInByte = 7120
; NumSgprs: 28
; NumVgprs: 94
; NumAgprs: 0
; TotalNumVgprs: 94
; ScratchSize: 0
; MemoryBound: 0
; FloatMode: 240
; IeeeMode: 1
; LDSByteSize: 0 bytes/workgroup (compile time only)
; SGPRBlocks: 3
; VGPRBlocks: 11
; NumSGPRsForWavesPerEU: 28
; NumVGPRsForWavesPerEU: 94
; AccumOffset: 96
; Occupancy: 5
; WaveLimiterHint : 1
; COMPUTE_PGM_RSRC2:SCRATCH_EN: 0
; COMPUTE_PGM_RSRC2:USER_SGPR: 2
; COMPUTE_PGM_RSRC2:TRAP_HANDLER: 0
; COMPUTE_PGM_RSRC2:TGID_X_EN: 1
; COMPUTE_PGM_RSRC2:TGID_Y_EN: 0
; COMPUTE_PGM_RSRC2:TGID_Z_EN: 0
; COMPUTE_PGM_RSRC2:TIDIG_COMP_CNT: 0
; COMPUTE_PGM_RSRC3_GFX90A:ACCUM_OFFSET: 23
; COMPUTE_PGM_RSRC3_GFX90A:TG_SPLIT: 0
	.text
	.p2alignl 6, 3212836864
	.fill 256, 4, 3212836864
	.type	__hip_cuid_324b142ca62de7e9,@object ; @__hip_cuid_324b142ca62de7e9
	.section	.bss,"aw",@nobits
	.globl	__hip_cuid_324b142ca62de7e9
__hip_cuid_324b142ca62de7e9:
	.byte	0                               ; 0x0
	.size	__hip_cuid_324b142ca62de7e9, 1

	.ident	"AMD clang version 19.0.0git (https://github.com/RadeonOpenCompute/llvm-project roc-6.4.0 25133 c7fe45cf4b819c5991fe208aaa96edf142730f1d)"
	.section	".note.GNU-stack","",@progbits
	.addrsig
	.addrsig_sym __hip_cuid_324b142ca62de7e9
	.amdgpu_metadata
---
amdhsa.kernels:
  - .agpr_count:     0
    .args:
      - .actual_access:  read_only
        .address_space:  global
        .offset:         0
        .size:           8
        .value_kind:     global_buffer
      - .offset:         8
        .size:           8
        .value_kind:     by_value
      - .actual_access:  read_only
        .address_space:  global
        .offset:         16
        .size:           8
        .value_kind:     global_buffer
      - .actual_access:  read_only
        .address_space:  global
        .offset:         24
        .size:           8
        .value_kind:     global_buffer
      - .offset:         32
        .size:           8
        .value_kind:     by_value
      - .actual_access:  read_only
        .address_space:  global
        .offset:         40
        .size:           8
        .value_kind:     global_buffer
      - .actual_access:  read_only
        .address_space:  global
        .offset:         48
        .size:           8
        .value_kind:     global_buffer
      - .offset:         56
        .size:           4
        .value_kind:     by_value
      - .actual_access:  read_only
        .address_space:  global
        .offset:         64
        .size:           8
        .value_kind:     global_buffer
      - .actual_access:  read_only
        .address_space:  global
        .offset:         72
        .size:           8
        .value_kind:     global_buffer
      - .address_space:  global
        .offset:         80
        .size:           8
        .value_kind:     global_buffer
    .group_segment_fixed_size: 0
    .kernarg_segment_align: 8
    .kernarg_segment_size: 88
    .language:       OpenCL C
    .language_version:
      - 2
      - 0
    .max_flat_workgroup_size: 176
    .name:           fft_rtc_back_len792_factors_2_2_2_3_3_11_wgs_176_tpt_88_half_ip_CI_unitstride_sbrr_dirReg
    .private_segment_fixed_size: 0
    .sgpr_count:     28
    .sgpr_spill_count: 0
    .symbol:         fft_rtc_back_len792_factors_2_2_2_3_3_11_wgs_176_tpt_88_half_ip_CI_unitstride_sbrr_dirReg.kd
    .uniform_work_group_size: 1
    .uses_dynamic_stack: false
    .vgpr_count:     94
    .vgpr_spill_count: 0
    .wavefront_size: 64
amdhsa.target:   amdgcn-amd-amdhsa--gfx950
amdhsa.version:
  - 1
  - 2
...

	.end_amdgpu_metadata
